;; amdgpu-corpus repo=zjin-lcf/HeCBench kind=compiled arch=gfx906 opt=O3
	.amdgcn_target "amdgcn-amd-amdhsa--gfx906"
	.amdhsa_code_object_version 6
	.text
	.protected	_Z15nbnxmKernelTestPK15HIP_vector_typeIfLj4EEPN3gmx11BasicVectorIfEES6_S6_P11nbnxn_cj4_tPK9nbnxn_sciPK12nbnxn_excl_tPKiPKS_IfLj2EEifffb ; -- Begin function _Z15nbnxmKernelTestPK15HIP_vector_typeIfLj4EEPN3gmx11BasicVectorIfEES6_S6_P11nbnxn_cj4_tPK9nbnxn_sciPK12nbnxn_excl_tPKiPKS_IfLj2EEifffb
	.globl	_Z15nbnxmKernelTestPK15HIP_vector_typeIfLj4EEPN3gmx11BasicVectorIfEES6_S6_P11nbnxn_cj4_tPK9nbnxn_sciPK12nbnxn_excl_tPKiPKS_IfLj2EEifffb
	.p2align	8
	.type	_Z15nbnxmKernelTestPK15HIP_vector_typeIfLj4EEPN3gmx11BasicVectorIfEES6_S6_P11nbnxn_cj4_tPK9nbnxn_sciPK12nbnxn_excl_tPKiPKS_IfLj2EEifffb,@function
_Z15nbnxmKernelTestPK15HIP_vector_typeIfLj4EEPN3gmx11BasicVectorIfEES6_S6_P11nbnxn_cj4_tPK9nbnxn_sciPK12nbnxn_excl_tPKiPKS_IfLj2EEifffb: ; @_Z15nbnxmKernelTestPK15HIP_vector_typeIfLj4EEPN3gmx11BasicVectorIfEES6_S6_P11nbnxn_cj4_tPK9nbnxn_sciPK12nbnxn_excl_tPKiPKS_IfLj2EEifffb
; %bb.0:
	s_mov_b64 s[58:59], s[2:3]
	s_mov_b64 s[56:57], s[0:1]
	s_load_dwordx2 s[0:1], s[4:5], 0x28
	s_load_dwordx2 s[26:27], s[4:5], 0x38
	s_add_u32 s56, s56, s8
	s_mov_b32 s24, s7
	s_mov_b32 s25, 0
	s_addc_u32 s57, s57, 0
	s_lshl_b64 s[2:3], s[24:25], 4
	s_waitcnt lgkmcnt(0)
	s_add_u32 s0, s0, s2
	s_addc_u32 s1, s1, s3
	s_load_dwordx4 s[16:19], s[0:1], 0x0
	s_load_dwordx8 s[8:15], s[4:5], 0x0
	v_lshl_add_u32 v19, v1, 3, v0
	v_mov_b32_e32 v8, s27
	s_waitcnt lgkmcnt(0)
	s_lshl_b32 s43, s16, 6
	v_add_u32_e32 v6, s43, v19
	v_ashrrev_i32_e32 v7, 31, v6
	v_lshlrev_b64 v[2:3], 4, v[6:7]
	v_mov_b32_e32 v4, s9
	v_add_co_u32_e32 v2, vcc, s8, v2
	v_addc_co_u32_e32 v3, vcc, v4, v3, vcc
	v_lshlrev_b64 v[6:7], 2, v[6:7]
	global_load_dwordx4 v[2:5], v[2:3], off
	v_add_co_u32_e32 v6, vcc, s26, v6
	v_addc_co_u32_e32 v7, vcc, v8, v7, vcc
	global_load_dword v8, v[6:7], off
	s_mul_i32 s42, s17, 12
	s_mul_hi_i32 s33, s17, 12
	s_add_u32 s0, s12, s42
	s_addc_u32 s1, s13, s33
	s_load_dword s44, s[4:5], 0x58
	s_load_dwordx4 s[20:23], s[4:5], 0x48
	s_load_dwordx2 s[2:3], s[0:1], 0x0
	s_load_dword s12, s[0:1], 0x8
	s_cmp_lg_u32 s17, 22
	v_lshlrev_b32_e32 v6, 4, v19
	s_cselect_b64 s[6:7], -1, 0
	s_cmp_ge_i32 s18, s19
	v_mad_i32_i24 v7, v19, -12, v6
	s_waitcnt vmcnt(1)
	v_add_f32_e32 v5, 0, v5
	s_waitcnt lgkmcnt(0)
	v_add_f32_e32 v2, s2, v2
	v_add_f32_e32 v3, s3, v3
	v_add_f32_e32 v4, s12, v4
	v_mul_f32_e32 v5, s23, v5
	ds_write_b128 v6, v[2:5]
	s_waitcnt vmcnt(0)
	ds_write_b32 v7, v8 offset:1792
	s_waitcnt lgkmcnt(0)
	s_barrier
	s_cbranch_scc1 .LBB0_45
; %bb.1:
	s_load_dwordx2 s[12:13], s[4:5], 0x40
	s_load_dwordx2 s[28:29], s[4:5], 0x20
	;; [unrolled: 1-line block ×3, first 2 shown]
	v_and_b32_e32 v2, 31, v19
	v_cmp_gt_u32_e32 vcc, v1, v0
	v_lshlrev_b32_e32 v2, 2, v2
	s_or_b64 s[30:31], vcc, s[6:7]
	s_waitcnt lgkmcnt(0)
	v_mov_b32_e32 v3, s1
	v_add_co_u32_e32 v2, vcc, s0, v2
	buffer_store_dword v2, off, s[56:59], 0 offset:44 ; 4-byte Folded Spill
	v_addc_co_u32_e32 v2, vcc, 0, v3, vcc
	buffer_store_dword v2, off, s[56:59], 0 offset:48 ; 4-byte Folded Spill
	v_and_b32_e32 v2, 1, v0
	v_cmp_eq_u32_e64 s[0:1], 0, v2
	v_and_b32_e32 v2, 2, v0
	v_cmp_eq_u32_e64 s[2:3], 0, v2
	v_lshlrev_b32_e32 v2, 2, v0
	v_mov_b32_e32 v3, s11
	v_add_co_u32_e32 v2, vcc, s10, v2
	v_addc_co_u32_e32 v3, vcc, 0, v3, vcc
	buffer_store_dword v19, off, s[56:59], 0 offset:60 ; 4-byte Folded Spill
	buffer_store_dword v2, off, s[56:59], 0 offset:4 ; 4-byte Folded Spill
	s_nop 0
	buffer_store_dword v3, off, s[56:59], 0 offset:8 ; 4-byte Folded Spill
	v_lshlrev_b32_e32 v3, 4, v0
	v_mov_b32_e32 v44, v3
	v_mad_i32_i24 v3, v0, -12, v3
	buffer_store_dword v3, off, s[56:59], 0 offset:12 ; 4-byte Folded Spill
	v_mad_u32_u24 v3, v0, 12, v3
	v_mov_b32_e32 v46, v3
	v_mad_i32_i24 v3, v0, -12, v3
	buffer_store_dword v3, off, s[56:59], 0 offset:16 ; 4-byte Folded Spill
	v_mad_u32_u24 v3, v0, 12, v3
	;; [unrolled: 4-line block ×6, first 2 shown]
	v_mov_b32_e32 v27, v3
	v_mad_i32_i24 v3, v0, -12, v3
	v_cmp_gt_u32_e64 s[4:5], 3, v0
	v_mul_i32_i24_e32 v2, -12, v0
	buffer_store_dword v0, off, s[56:59], 0 offset:56 ; 4-byte Folded Spill
	buffer_store_dword v3, off, s[56:59], 0 offset:36 ; 4-byte Folded Spill
	v_mad_u32_u24 v0, v0, 12, v3
	v_lshrrev_b32_e32 v4, 5, v19
	v_mov_b32_e32 v18, 0
	v_mov_b32_e32 v26, v0
	v_add_u32_e32 v0, v0, v2
	s_lshl_b32 s45, s16, 3
	v_mov_b32_e32 v19, v18
	v_mov_b32_e32 v20, v18
	;; [unrolled: 1-line block ×7, first 2 shown]
	v_lshlrev_b32_e32 v34, 3, v4
	buffer_store_dword v0, off, s[56:59], 0 offset:40 ; 4-byte Folded Spill
	v_mbcnt_lo_u32_b32 v0, -1, 0
	v_mul_f32_e64 v56, s22, s22
	v_mov_b32_e32 v2, v18
	v_mov_b32_e32 v10, v18
	s_or_b32 s46, s45, 1
	s_or_b32 s47, s45, 2
	;; [unrolled: 1-line block ×7, first 2 shown]
	v_mbcnt_hi_u32_b32 v55, -1, v0
	s_mov_b32 s16, s18
	v_mul_f32_e32 v57, s22, v56
	v_mov_b32_e32 v58, 0xbc9ded90
	v_mov_b32_e32 v59, 0x3d8eaf3b
	;; [unrolled: 1-line block ×24, first 2 shown]
	buffer_store_dword v0, off, s[56:59], 0 ; 4-byte Folded Spill
	buffer_store_dword v34, off, s[56:59], 0 offset:52 ; 4-byte Folded Spill
	s_branch .LBB0_4
.LBB0_2:                                ;   in Loop: Header=BB0_4 Depth=1
	buffer_load_dword v34, off, s[56:59], 0 offset:52 ; 4-byte Folded Reload
.LBB0_3:                                ;   in Loop: Header=BB0_4 Depth=1
	s_or_b64 exec, exec, s[34:35]
	s_add_i32 s16, s16, 1
	s_cmp_ge_i32 s16, s19
	s_cbranch_scc1 .LBB0_46
.LBB0_4:                                ; =>This Loop Header: Depth=1
                                        ;     Child Loop BB0_8 Depth 2
                                        ;       Child Loop BB0_43 Depth 3
	s_ashr_i32 s17, s16, 31
	s_lshl_b64 s[22:23], s[16:17], 5
	s_add_u32 s22, s28, s22
	s_addc_u32 s23, s29, s23
	s_waitcnt vmcnt(0)
	global_load_dword v25, v34, s[22:23] offset:16
	s_waitcnt vmcnt(0)
	v_cmp_ne_u32_e32 vcc, 0, v25
	s_and_saveexec_b64 s[34:35], vcc
	s_cbranch_execz .LBB0_3
; %bb.5:                                ;   in Loop: Header=BB0_4 Depth=1
	v_mov_b32_e32 v0, s23
	v_add_co_u32_e32 v19, vcc, s22, v34
	v_addc_co_u32_e32 v20, vcc, 0, v0, vcc
	global_load_dword v19, v[19:20], off offset:20
	s_mov_b32 s24, 0
	buffer_load_dword v0, off, s[56:59], 0 offset:44 ; 4-byte Folded Reload
	s_waitcnt vmcnt(1)
	v_ashrrev_i32_e32 v20, 31, v19
	v_lshlrev_b64 v[19:20], 7, v[19:20]
	s_waitcnt vmcnt(0)
	v_add_co_u32_e32 v19, vcc, v0, v19
	buffer_load_dword v0, off, s[56:59], 0 offset:48 ; 4-byte Folded Reload
	s_waitcnt vmcnt(0)
	v_addc_co_u32_e32 v20, vcc, v0, v20, vcc
	global_load_dword v61, v[19:20], off
	s_branch .LBB0_8
.LBB0_6:                                ;   in Loop: Header=BB0_8 Depth=2
	s_or_b64 exec, exec, s[38:39]
.LBB0_7:                                ;   in Loop: Header=BB0_8 Depth=2
	s_or_b64 exec, exec, s[36:37]
	s_add_i32 s24, s24, 1
	s_cmp_lg_u32 s24, 4
	s_cbranch_scc0 .LBB0_2
.LBB0_8:                                ;   Parent Loop BB0_4 Depth=1
                                        ; =>  This Loop Header: Depth=2
                                        ;       Child Loop BB0_43 Depth 3
	s_lshl_b32 s17, s24, 3
	v_bfe_u32 v0, v25, s17, 8
	v_cmp_ne_u32_e32 vcc, 0, v0
	s_and_saveexec_b64 s[36:37], vcc
	s_cbranch_execz .LBB0_7
; %bb.9:                                ;   in Loop: Header=BB0_8 Depth=2
	s_lshl_b32 s18, 1, s17
	s_lshl_b64 s[38:39], s[24:25], 2
	s_add_u32 s38, s22, s38
	s_addc_u32 s39, s23, s39
	s_load_dword s17, s[38:39], 0x0
	v_mov_b32_e32 v0, s9
	v_mov_b32_e32 v34, 0
	;; [unrolled: 1-line block ×4, first 2 shown]
	s_waitcnt lgkmcnt(0)
	v_lshl_add_u32 v23, s17, 3, v1
	s_waitcnt vmcnt(0)
	v_ashrrev_i32_e32 v24, 31, v23
	v_lshlrev_b64 v[19:20], 4, v[23:24]
	v_lshlrev_b64 v[36:37], 2, v[23:24]
	v_add_co_u32_e32 v19, vcc, s8, v19
	v_addc_co_u32_e32 v20, vcc, v0, v20, vcc
	v_mov_b32_e32 v0, s27
	v_add_co_u32_e32 v36, vcc, s26, v36
	v_addc_co_u32_e32 v37, vcc, v0, v37, vcc
	global_load_dwordx4 v[19:22], v[19:20], off
	v_and_b32_e32 v0, s18, v25
	global_load_dword v24, v[36:37], off
	v_cmp_ne_u32_e32 vcc, 0, v0
	s_and_saveexec_b64 s[38:39], vcc
	s_cbranch_execz .LBB0_13
; %bb.10:                               ;   in Loop: Header=BB0_8 Depth=2
	ds_read_b96 v[40:42], v44
	s_cmp_lg_u32 s45, s17
	s_cselect_b64 s[40:41], -1, 0
	s_or_b64 s[40:41], s[30:31], s[40:41]
	v_mov_b32_e32 v62, 0
	s_waitcnt vmcnt(1) lgkmcnt(0)
	v_sub_f32_e32 v37, v41, v20
	v_sub_f32_e32 v39, v40, v19
	v_mul_f32_e32 v0, v37, v37
	v_sub_f32_e32 v36, v42, v21
	v_fmac_f32_e32 v0, v39, v39
	v_fmac_f32_e32 v0, v36, v36
	v_cmp_gt_f32_e32 vcc, s21, v0
	s_and_b64 s[54:55], vcc, s[40:41]
	v_mov_b32_e32 v63, 0
	v_mov_b32_e32 v34, 0
	s_and_saveexec_b64 s[40:41], s[54:55]
	s_cbranch_execz .LBB0_12
; %bb.11:                               ;   in Loop: Header=BB0_8 Depth=2
	buffer_load_dword v38, off, s[56:59], 0 offset:12 ; 4-byte Folded Reload
	v_and_b32_e32 v40, s18, v61
	ds_read_b32 v34, v44 offset:12
	v_cmp_eq_u32_e32 vcc, 0, v40
	v_cndmask_b32_e64 v45, 1.0, 0, vcc
	v_mov_b32_e32 v42, s13
	v_max_f32_e32 v0, v0, v0
	s_waitcnt vmcnt(0)
	ds_read_b32 v40, v38 offset:1792
	s_waitcnt lgkmcnt(1)
	v_mul_f32_e32 v34, v22, v34
	s_waitcnt lgkmcnt(0)
	v_mad_u64_u32 v[40:41], s[54:55], v40, s20, v[24:25]
	v_ashrrev_i32_e32 v41, 31, v40
	v_lshlrev_b64 v[40:41], 3, v[40:41]
	v_add_co_u32_e32 v40, vcc, s12, v40
	v_addc_co_u32_e32 v41, vcc, v42, v41, vcc
	global_load_dwordx2 v[42:43], v[40:41], off
	v_max_f32_e32 v40, 0x34cd15ae, v0
	v_rsq_f32_e32 v41, v40
	v_mul_f32_e32 v47, v41, v41
	v_mul_f32_e32 v0, v47, v47
	;; [unrolled: 1-line block ×4, first 2 shown]
	s_waitcnt vmcnt(0)
	v_fma_f32 v42, v0, v43, -v42
	v_mul_f32_e32 v0, v0, v42
	v_mul_f32_e32 v43, v45, v47
	;; [unrolled: 1-line block ×5, first 2 shown]
	v_mov_b32_e32 v40, 0x3ded3cb2
	v_fmac_f32_e32 v40, 0x3a92b707, v47
	v_mov_b32_e32 v42, 0x3f01e2bc
	v_fmac_f32_e32 v42, 0x3c739487, v47
	v_fma_f32 v40, v47, v40, 1.0
	v_fmac_f32_e32 v40, v45, v42
	v_div_scale_f32 v42, s[54:55], v40, v40, 1.0
	v_rcp_f32_e32 v50, v42
	v_fma_f32 v62, -v42, v50, 1.0
	v_fmac_f32_e32 v50, v62, v50
	v_div_scale_f32 v62, vcc, 1.0, v40, 1.0
	v_mul_f32_e32 v63, v62, v50
	v_fma_f32 v54, -v42, v63, v62
	v_fmac_f32_e32 v63, v54, v50
	v_fma_f32 v42, -v42, v63, v62
	v_div_fmas_f32 v42, v42, v50, v63
	v_mov_b32_e32 v50, 0x3a83ca0c
	v_fmac_f32_e32 v50, 0x35c55945, v47
	v_fma_f32 v50, v47, v50, v59
	v_div_fixup_f32 v40, v42, v40, 1.0
	v_mov_b32_e32 v42, 0xb85ffb93
	v_fmac_f32_e32 v42, 0xb2951928, v47
	v_fma_f32 v42, v47, v42, v58
	v_fma_f32 v42, v47, v42, v60
	v_fmac_f32_e32 v42, v45, v50
	v_mul_f32_e32 v40, v40, v42
	v_mul_f32_e32 v40, v57, v40
	v_fmac_f32_e32 v40, v41, v43
	v_fmac_f32_e32 v0, v40, v34
	v_fma_f32 v34, -v39, v0, 0
	v_fma_f32 v63, -v37, v0, 0
	v_fma_f32 v62, -v36, v0, 0
	v_fma_f32 v2, v39, v0, v2
	v_fma_f32 v10, v37, v0, v10
	v_fmac_f32_e32 v18, v36, v0
.LBB0_12:                               ;   in Loop: Header=BB0_8 Depth=2
	s_or_b64 exec, exec, s[40:41]
.LBB0_13:                               ;   in Loop: Header=BB0_8 Depth=2
	s_or_b64 exec, exec, s[38:39]
	s_lshl_b32 s53, s18, 1
	v_and_b32_e32 v0, s53, v25
	v_cmp_ne_u32_e32 vcc, 0, v0
	s_and_saveexec_b64 s[38:39], vcc
	s_cbranch_execz .LBB0_17
; %bb.14:                               ;   in Loop: Header=BB0_8 Depth=2
	ds_read_b96 v[39:41], v46 offset:128
	s_cmp_lg_u32 s46, s17
	s_cselect_b64 s[40:41], -1, 0
	s_or_b64 s[40:41], s[30:31], s[40:41]
	s_waitcnt vmcnt(1) lgkmcnt(0)
	v_sub_f32_e32 v37, v40, v20
	v_sub_f32_e32 v39, v39, v19
	v_mul_f32_e32 v0, v37, v37
	v_sub_f32_e32 v36, v41, v21
	v_fmac_f32_e32 v0, v39, v39
	v_fmac_f32_e32 v0, v36, v36
	v_cmp_gt_f32_e32 vcc, s21, v0
	s_and_b64 s[54:55], vcc, s[40:41]
	s_and_saveexec_b64 s[40:41], s[54:55]
	s_cbranch_execz .LBB0_16
; %bb.15:                               ;   in Loop: Header=BB0_8 Depth=2
	buffer_load_dword v38, off, s[56:59], 0 offset:16 ; 4-byte Folded Reload
	v_and_b32_e32 v40, s53, v61
	ds_read_b32 v42, v46 offset:140
	v_cmp_eq_u32_e32 vcc, 0, v40
	v_cndmask_b32_e64 v45, 1.0, 0, vcc
	v_mov_b32_e32 v43, s13
	v_max_f32_e32 v0, v0, v0
	v_max_f32_e32 v47, 0x34cd15ae, v0
	s_waitcnt vmcnt(0)
	ds_read_b32 v40, v38 offset:1824
	s_waitcnt lgkmcnt(0)
	v_mad_u64_u32 v[40:41], s[54:55], v40, s20, v[24:25]
	v_ashrrev_i32_e32 v41, 31, v40
	v_lshlrev_b64 v[40:41], 3, v[40:41]
	v_add_co_u32_e32 v40, vcc, s12, v40
	v_addc_co_u32_e32 v41, vcc, v43, v41, vcc
	global_load_dwordx2 v[40:41], v[40:41], off
	v_rsq_f32_e32 v43, v47
	v_mul_f32_e32 v47, v56, v47
	v_mul_f32_e32 v50, v43, v43
	;; [unrolled: 1-line block ×6, first 2 shown]
	s_waitcnt vmcnt(0)
	v_fma_f32 v40, v0, v41, -v40
	v_mul_f32_e32 v0, v0, v40
	v_mul_f32_e32 v0, v50, v0
	v_mul_f32_e32 v50, v47, v47
	v_mov_b32_e32 v40, 0x3ded3cb2
	v_mul_f32_e32 v41, v22, v42
	v_fmac_f32_e32 v40, 0x3a92b707, v50
	v_mov_b32_e32 v42, 0x3f01e2bc
	v_fmac_f32_e32 v42, 0x3c739487, v50
	v_fma_f32 v40, v50, v40, 1.0
	v_fmac_f32_e32 v40, v47, v42
	v_div_scale_f32 v42, s[54:55], v40, v40, 1.0
	v_rcp_f32_e32 v54, v42
	v_fma_f32 v38, -v42, v54, 1.0
	v_fmac_f32_e32 v54, v38, v54
	v_div_scale_f32 v38, vcc, 1.0, v40, 1.0
	v_mul_f32_e32 v52, v38, v54
	v_fma_f32 v49, -v42, v52, v38
	v_fmac_f32_e32 v52, v49, v54
	v_fma_f32 v38, -v42, v52, v38
	v_div_fmas_f32 v38, v38, v54, v52
	v_mov_b32_e32 v42, 0x3a83ca0c
	v_fmac_f32_e32 v42, 0x35c55945, v50
	v_fma_f32 v42, v50, v42, v59
	v_div_fixup_f32 v38, v38, v40, 1.0
	v_mov_b32_e32 v40, 0xb85ffb93
	v_fmac_f32_e32 v40, 0xb2951928, v50
	v_fma_f32 v40, v50, v40, v58
	v_fma_f32 v40, v50, v40, v60
	v_fmac_f32_e32 v40, v47, v42
	v_mul_f32_e32 v38, v38, v40
	v_mul_f32_e32 v38, v57, v38
	v_fmac_f32_e32 v38, v43, v45
	v_fmac_f32_e32 v0, v38, v41
	v_fma_f32 v63, -v37, v0, v63
	v_fma_f32 v11, v37, v0, v11
	buffer_load_dword v37, off, s[56:59], 0 ; 4-byte Folded Reload
	v_fma_f32 v34, -v39, v0, v34
	v_fma_f32 v62, -v36, v0, v62
	v_fma_f32 v3, v39, v0, v3
	s_waitcnt vmcnt(0)
	v_fmac_f32_e32 v37, v36, v0
	buffer_store_dword v37, off, s[56:59], 0 ; 4-byte Folded Spill
.LBB0_16:                               ;   in Loop: Header=BB0_8 Depth=2
	s_or_b64 exec, exec, s[40:41]
.LBB0_17:                               ;   in Loop: Header=BB0_8 Depth=2
	s_or_b64 exec, exec, s[38:39]
	s_lshl_b32 s53, s18, 2
	v_and_b32_e32 v0, s53, v25
	v_cmp_ne_u32_e32 vcc, 0, v0
	s_and_saveexec_b64 s[38:39], vcc
	s_cbranch_execz .LBB0_21
; %bb.18:                               ;   in Loop: Header=BB0_8 Depth=2
	ds_read_b96 v[39:41], v48 offset:256
	s_cmp_lg_u32 s47, s17
	s_cselect_b64 s[40:41], -1, 0
	s_or_b64 s[40:41], s[30:31], s[40:41]
	s_waitcnt vmcnt(1) lgkmcnt(0)
	v_sub_f32_e32 v37, v40, v20
	v_sub_f32_e32 v39, v39, v19
	v_mul_f32_e32 v0, v37, v37
	v_sub_f32_e32 v36, v41, v21
	v_fmac_f32_e32 v0, v39, v39
	v_fmac_f32_e32 v0, v36, v36
	v_cmp_gt_f32_e32 vcc, s21, v0
	s_and_b64 s[54:55], vcc, s[40:41]
	s_and_saveexec_b64 s[40:41], s[54:55]
	s_cbranch_execz .LBB0_20
; %bb.19:                               ;   in Loop: Header=BB0_8 Depth=2
	v_and_b32_e32 v40, s53, v61
	v_cmp_eq_u32_e32 vcc, 0, v40
	buffer_load_dword v40, off, s[56:59], 0 offset:20 ; 4-byte Folded Reload
	ds_read_b32 v38, v48 offset:268
	v_cndmask_b32_e64 v42, 1.0, 0, vcc
	v_mov_b32_e32 v43, s13
	v_max_f32_e32 v0, v0, v0
	v_max_f32_e32 v47, 0x34cd15ae, v0
	s_waitcnt vmcnt(0)
	ds_read_b32 v40, v40 offset:1856
	s_waitcnt lgkmcnt(0)
	v_mad_u64_u32 v[40:41], s[54:55], v40, s20, v[24:25]
	v_ashrrev_i32_e32 v41, 31, v40
	v_lshlrev_b64 v[40:41], 3, v[40:41]
	v_add_co_u32_e32 v40, vcc, s12, v40
	v_addc_co_u32_e32 v41, vcc, v43, v41, vcc
	global_load_dwordx2 v[40:41], v[40:41], off
	v_rsq_f32_e32 v43, v47
	v_mul_f32_e32 v47, v56, v47
	v_mul_f32_e32 v50, v47, v47
	;; [unrolled: 1-line block ×6, first 2 shown]
	s_waitcnt vmcnt(0)
	v_fma_f32 v40, v0, v41, -v40
	v_mul_f32_e32 v41, v22, v38
	v_mov_b32_e32 v38, 0x3ded3cb2
	v_mul_f32_e32 v0, v0, v40
	v_fmac_f32_e32 v38, 0x3a92b707, v50
	v_mov_b32_e32 v40, 0x3f01e2bc
	v_fmac_f32_e32 v40, 0x3c739487, v50
	v_fma_f32 v38, v50, v38, 1.0
	v_fmac_f32_e32 v38, v47, v40
	v_div_scale_f32 v40, s[54:55], v38, v38, 1.0
	v_mul_f32_e32 v0, v45, v0
	v_mul_f32_e32 v45, v42, v45
	v_rcp_f32_e32 v42, v40
	v_fma_f32 v49, -v40, v42, 1.0
	v_fmac_f32_e32 v42, v49, v42
	v_div_scale_f32 v49, vcc, 1.0, v38, 1.0
	v_mul_f32_e32 v52, v49, v42
	v_fma_f32 v54, -v40, v52, v49
	v_fmac_f32_e32 v52, v54, v42
	v_fma_f32 v40, -v40, v52, v49
	v_div_fmas_f32 v40, v40, v42, v52
	v_mov_b32_e32 v42, 0x3a83ca0c
	v_fmac_f32_e32 v42, 0x35c55945, v50
	v_fma_f32 v42, v50, v42, v59
	v_div_fixup_f32 v38, v40, v38, 1.0
	v_mov_b32_e32 v40, 0xb85ffb93
	v_fmac_f32_e32 v40, 0xb2951928, v50
	v_fma_f32 v40, v50, v40, v58
	v_fma_f32 v40, v50, v40, v60
	v_fmac_f32_e32 v40, v47, v42
	v_mul_f32_e32 v38, v38, v40
	v_mul_f32_e32 v38, v57, v38
	v_fmac_f32_e32 v38, v43, v45
	v_fmac_f32_e32 v0, v38, v41
	v_fma_f32 v34, -v39, v0, v34
	v_fma_f32 v63, -v37, v0, v63
	;; [unrolled: 1-line block ×3, first 2 shown]
	v_fma_f32 v4, v39, v0, v4
	v_fma_f32 v12, v37, v0, v12
	v_fmac_f32_e32 v35, v36, v0
.LBB0_20:                               ;   in Loop: Header=BB0_8 Depth=2
	s_or_b64 exec, exec, s[40:41]
.LBB0_21:                               ;   in Loop: Header=BB0_8 Depth=2
	s_or_b64 exec, exec, s[38:39]
	s_lshl_b32 s53, s18, 3
	v_and_b32_e32 v0, s53, v25
	v_cmp_ne_u32_e32 vcc, 0, v0
	s_and_saveexec_b64 s[38:39], vcc
	s_cbranch_execz .LBB0_25
; %bb.22:                               ;   in Loop: Header=BB0_8 Depth=2
	ds_read_b96 v[39:41], v51 offset:384
	s_cmp_lg_u32 s48, s17
	s_cselect_b64 s[40:41], -1, 0
	s_or_b64 s[40:41], s[30:31], s[40:41]
	s_waitcnt vmcnt(1) lgkmcnt(0)
	v_sub_f32_e32 v37, v40, v20
	v_sub_f32_e32 v39, v39, v19
	v_mul_f32_e32 v0, v37, v37
	v_sub_f32_e32 v36, v41, v21
	v_fmac_f32_e32 v0, v39, v39
	v_fmac_f32_e32 v0, v36, v36
	v_cmp_gt_f32_e32 vcc, s21, v0
	s_and_b64 s[54:55], vcc, s[40:41]
	s_and_saveexec_b64 s[40:41], s[54:55]
	s_cbranch_execz .LBB0_24
; %bb.23:                               ;   in Loop: Header=BB0_8 Depth=2
	v_and_b32_e32 v40, s53, v61
	v_cmp_eq_u32_e32 vcc, 0, v40
	buffer_load_dword v40, off, s[56:59], 0 offset:24 ; 4-byte Folded Reload
	ds_read_b32 v38, v51 offset:396
	v_cndmask_b32_e64 v42, 1.0, 0, vcc
	v_mov_b32_e32 v43, s13
	v_max_f32_e32 v0, v0, v0
	v_max_f32_e32 v47, 0x34cd15ae, v0
	s_waitcnt vmcnt(0)
	ds_read_b32 v40, v40 offset:1888
	s_waitcnt lgkmcnt(0)
	v_mad_u64_u32 v[40:41], s[54:55], v40, s20, v[24:25]
	v_ashrrev_i32_e32 v41, 31, v40
	v_lshlrev_b64 v[40:41], 3, v[40:41]
	v_add_co_u32_e32 v40, vcc, s12, v40
	v_addc_co_u32_e32 v41, vcc, v43, v41, vcc
	global_load_dwordx2 v[40:41], v[40:41], off
	v_rsq_f32_e32 v43, v47
	v_mul_f32_e32 v47, v56, v47
	v_mul_f32_e32 v50, v47, v47
	;; [unrolled: 1-line block ×6, first 2 shown]
	s_waitcnt vmcnt(0)
	v_fma_f32 v40, v0, v41, -v40
	v_mul_f32_e32 v41, v22, v38
	v_mov_b32_e32 v38, 0x3ded3cb2
	v_mul_f32_e32 v0, v0, v40
	v_fmac_f32_e32 v38, 0x3a92b707, v50
	v_mov_b32_e32 v40, 0x3f01e2bc
	v_fmac_f32_e32 v40, 0x3c739487, v50
	v_fma_f32 v38, v50, v38, 1.0
	v_fmac_f32_e32 v38, v47, v40
	v_div_scale_f32 v40, s[54:55], v38, v38, 1.0
	v_mul_f32_e32 v0, v45, v0
	v_mul_f32_e32 v45, v42, v45
	v_rcp_f32_e32 v42, v40
	v_fma_f32 v49, -v40, v42, 1.0
	v_fmac_f32_e32 v42, v49, v42
	v_div_scale_f32 v49, vcc, 1.0, v38, 1.0
	v_mul_f32_e32 v52, v49, v42
	v_fma_f32 v54, -v40, v52, v49
	v_fmac_f32_e32 v52, v54, v42
	v_fma_f32 v40, -v40, v52, v49
	v_div_fmas_f32 v40, v40, v42, v52
	v_mov_b32_e32 v42, 0x3a83ca0c
	v_fmac_f32_e32 v42, 0x35c55945, v50
	v_fma_f32 v42, v50, v42, v59
	v_div_fixup_f32 v38, v40, v38, 1.0
	v_mov_b32_e32 v40, 0xb85ffb93
	v_fmac_f32_e32 v40, 0xb2951928, v50
	v_fma_f32 v40, v50, v40, v58
	v_fma_f32 v40, v50, v40, v60
	v_fmac_f32_e32 v40, v47, v42
	v_mul_f32_e32 v38, v38, v40
	v_mul_f32_e32 v38, v57, v38
	v_fmac_f32_e32 v38, v43, v45
	v_fmac_f32_e32 v0, v38, v41
	v_fma_f32 v34, -v39, v0, v34
	v_fma_f32 v63, -v37, v0, v63
	;; [unrolled: 1-line block ×3, first 2 shown]
	v_fma_f32 v5, v39, v0, v5
	v_fma_f32 v13, v37, v0, v13
	v_fmac_f32_e32 v33, v36, v0
.LBB0_24:                               ;   in Loop: Header=BB0_8 Depth=2
	s_or_b64 exec, exec, s[40:41]
.LBB0_25:                               ;   in Loop: Header=BB0_8 Depth=2
	s_or_b64 exec, exec, s[38:39]
	s_lshl_b32 s53, s18, 4
	v_and_b32_e32 v0, s53, v25
	v_cmp_ne_u32_e32 vcc, 0, v0
	s_and_saveexec_b64 s[38:39], vcc
	s_cbranch_execz .LBB0_29
; %bb.26:                               ;   in Loop: Header=BB0_8 Depth=2
	ds_read_b96 v[39:41], v53 offset:512
	s_cmp_lg_u32 s49, s17
	s_cselect_b64 s[40:41], -1, 0
	s_or_b64 s[40:41], s[30:31], s[40:41]
	s_waitcnt vmcnt(1) lgkmcnt(0)
	v_sub_f32_e32 v37, v40, v20
	v_sub_f32_e32 v39, v39, v19
	v_mul_f32_e32 v0, v37, v37
	v_sub_f32_e32 v36, v41, v21
	v_fmac_f32_e32 v0, v39, v39
	v_fmac_f32_e32 v0, v36, v36
	v_cmp_gt_f32_e32 vcc, s21, v0
	s_and_b64 s[54:55], vcc, s[40:41]
	s_and_saveexec_b64 s[40:41], s[54:55]
	s_cbranch_execz .LBB0_28
; %bb.27:                               ;   in Loop: Header=BB0_8 Depth=2
	v_and_b32_e32 v40, s53, v61
	v_cmp_eq_u32_e32 vcc, 0, v40
	buffer_load_dword v40, off, s[56:59], 0 offset:28 ; 4-byte Folded Reload
	v_cndmask_b32_e64 v42, 1.0, 0, vcc
	v_mov_b32_e32 v43, s13
	v_max_f32_e32 v0, v0, v0
	v_max_f32_e32 v47, 0x34cd15ae, v0
	ds_read_b32 v38, v53 offset:524
	s_waitcnt vmcnt(0)
	ds_read_b32 v40, v40 offset:1920
	s_waitcnt lgkmcnt(0)
	v_mad_u64_u32 v[40:41], s[54:55], v40, s20, v[24:25]
	v_ashrrev_i32_e32 v41, 31, v40
	v_lshlrev_b64 v[40:41], 3, v[40:41]
	v_add_co_u32_e32 v40, vcc, s12, v40
	v_addc_co_u32_e32 v41, vcc, v43, v41, vcc
	global_load_dwordx2 v[40:41], v[40:41], off
	v_rsq_f32_e32 v43, v47
	v_mul_f32_e32 v47, v56, v47
	v_mul_f32_e32 v50, v47, v47
	;; [unrolled: 1-line block ×6, first 2 shown]
	s_waitcnt vmcnt(0)
	v_fma_f32 v40, v0, v41, -v40
	v_mul_f32_e32 v41, v22, v38
	v_mov_b32_e32 v38, 0x3ded3cb2
	v_mul_f32_e32 v0, v0, v40
	v_fmac_f32_e32 v38, 0x3a92b707, v50
	v_mov_b32_e32 v40, 0x3f01e2bc
	v_fmac_f32_e32 v40, 0x3c739487, v50
	v_fma_f32 v38, v50, v38, 1.0
	v_fmac_f32_e32 v38, v47, v40
	v_div_scale_f32 v40, s[54:55], v38, v38, 1.0
	v_mul_f32_e32 v0, v45, v0
	v_mul_f32_e32 v45, v42, v45
	v_rcp_f32_e32 v42, v40
	v_fma_f32 v49, -v40, v42, 1.0
	v_fmac_f32_e32 v42, v49, v42
	v_div_scale_f32 v49, vcc, 1.0, v38, 1.0
	v_mul_f32_e32 v52, v49, v42
	v_fma_f32 v54, -v40, v52, v49
	v_fmac_f32_e32 v52, v54, v42
	v_fma_f32 v40, -v40, v52, v49
	v_div_fmas_f32 v40, v40, v42, v52
	v_mov_b32_e32 v42, 0x3a83ca0c
	v_fmac_f32_e32 v42, 0x35c55945, v50
	v_fma_f32 v42, v50, v42, v59
	v_div_fixup_f32 v38, v40, v38, 1.0
	v_mov_b32_e32 v40, 0xb85ffb93
	v_fmac_f32_e32 v40, 0xb2951928, v50
	v_fma_f32 v40, v50, v40, v58
	v_fma_f32 v40, v50, v40, v60
	v_fmac_f32_e32 v40, v47, v42
	v_mul_f32_e32 v38, v38, v40
	v_mul_f32_e32 v38, v57, v38
	v_fmac_f32_e32 v38, v43, v45
	v_fmac_f32_e32 v0, v38, v41
	v_fma_f32 v34, -v39, v0, v34
	v_fma_f32 v63, -v37, v0, v63
	;; [unrolled: 1-line block ×3, first 2 shown]
	v_fma_f32 v6, v39, v0, v6
	v_fma_f32 v14, v37, v0, v14
	v_fmac_f32_e32 v32, v36, v0
.LBB0_28:                               ;   in Loop: Header=BB0_8 Depth=2
	s_or_b64 exec, exec, s[40:41]
.LBB0_29:                               ;   in Loop: Header=BB0_8 Depth=2
	s_or_b64 exec, exec, s[38:39]
	s_lshl_b32 s53, s18, 5
	v_and_b32_e32 v0, s53, v25
	v_cmp_ne_u32_e32 vcc, 0, v0
	s_and_saveexec_b64 s[38:39], vcc
	s_cbranch_execz .LBB0_33
; %bb.30:                               ;   in Loop: Header=BB0_8 Depth=2
	ds_read_b96 v[39:41], v28 offset:640
	s_cmp_lg_u32 s50, s17
	s_cselect_b64 s[40:41], -1, 0
	s_or_b64 s[40:41], s[30:31], s[40:41]
	s_waitcnt vmcnt(1) lgkmcnt(0)
	v_sub_f32_e32 v37, v40, v20
	v_sub_f32_e32 v39, v39, v19
	v_mul_f32_e32 v0, v37, v37
	v_sub_f32_e32 v36, v41, v21
	v_fmac_f32_e32 v0, v39, v39
	v_fmac_f32_e32 v0, v36, v36
	v_cmp_gt_f32_e32 vcc, s21, v0
	s_and_b64 s[54:55], vcc, s[40:41]
	s_and_saveexec_b64 s[40:41], s[54:55]
	s_cbranch_execz .LBB0_32
; %bb.31:                               ;   in Loop: Header=BB0_8 Depth=2
	v_and_b32_e32 v40, s53, v61
	v_cmp_eq_u32_e32 vcc, 0, v40
	buffer_load_dword v40, off, s[56:59], 0 offset:32 ; 4-byte Folded Reload
	v_cndmask_b32_e64 v42, 1.0, 0, vcc
	v_mov_b32_e32 v43, s13
	v_max_f32_e32 v0, v0, v0
	v_max_f32_e32 v47, 0x34cd15ae, v0
	ds_read_b32 v38, v28 offset:652
	s_waitcnt vmcnt(0)
	ds_read_b32 v40, v40 offset:1952
	s_waitcnt lgkmcnt(0)
	v_mad_u64_u32 v[40:41], s[54:55], v40, s20, v[24:25]
	v_ashrrev_i32_e32 v41, 31, v40
	v_lshlrev_b64 v[40:41], 3, v[40:41]
	v_add_co_u32_e32 v40, vcc, s12, v40
	v_addc_co_u32_e32 v41, vcc, v43, v41, vcc
	global_load_dwordx2 v[40:41], v[40:41], off
	v_rsq_f32_e32 v43, v47
	v_mul_f32_e32 v47, v56, v47
	v_mul_f32_e32 v50, v47, v47
	;; [unrolled: 1-line block ×6, first 2 shown]
	s_waitcnt vmcnt(0)
	v_fma_f32 v40, v0, v41, -v40
	v_mul_f32_e32 v41, v22, v38
	v_mov_b32_e32 v38, 0x3ded3cb2
	v_mul_f32_e32 v0, v0, v40
	v_fmac_f32_e32 v38, 0x3a92b707, v50
	v_mov_b32_e32 v40, 0x3f01e2bc
	v_fmac_f32_e32 v40, 0x3c739487, v50
	v_fma_f32 v38, v50, v38, 1.0
	v_fmac_f32_e32 v38, v47, v40
	v_div_scale_f32 v40, s[54:55], v38, v38, 1.0
	v_mul_f32_e32 v0, v45, v0
	v_mul_f32_e32 v45, v42, v45
	v_rcp_f32_e32 v42, v40
	v_fma_f32 v49, -v40, v42, 1.0
	v_fmac_f32_e32 v42, v49, v42
	v_div_scale_f32 v49, vcc, 1.0, v38, 1.0
	v_mul_f32_e32 v52, v49, v42
	v_fma_f32 v54, -v40, v52, v49
	v_fmac_f32_e32 v52, v54, v42
	v_fma_f32 v40, -v40, v52, v49
	v_div_fmas_f32 v40, v40, v42, v52
	v_mov_b32_e32 v42, 0x3a83ca0c
	v_fmac_f32_e32 v42, 0x35c55945, v50
	v_fma_f32 v42, v50, v42, v59
	v_div_fixup_f32 v38, v40, v38, 1.0
	v_mov_b32_e32 v40, 0xb85ffb93
	v_fmac_f32_e32 v40, 0xb2951928, v50
	v_fma_f32 v40, v50, v40, v58
	v_fma_f32 v40, v50, v40, v60
	v_fmac_f32_e32 v40, v47, v42
	v_mul_f32_e32 v38, v38, v40
	v_mul_f32_e32 v38, v57, v38
	v_fmac_f32_e32 v38, v43, v45
	v_fmac_f32_e32 v0, v38, v41
	v_fma_f32 v34, -v39, v0, v34
	v_fma_f32 v63, -v37, v0, v63
	;; [unrolled: 1-line block ×3, first 2 shown]
	v_fma_f32 v7, v39, v0, v7
	v_fma_f32 v15, v37, v0, v15
	v_fmac_f32_e32 v31, v36, v0
.LBB0_32:                               ;   in Loop: Header=BB0_8 Depth=2
	s_or_b64 exec, exec, s[40:41]
.LBB0_33:                               ;   in Loop: Header=BB0_8 Depth=2
	s_or_b64 exec, exec, s[38:39]
	s_lshl_b32 s53, s18, 6
	v_and_b32_e32 v0, s53, v25
	v_cmp_ne_u32_e32 vcc, 0, v0
	s_and_saveexec_b64 s[38:39], vcc
	s_cbranch_execz .LBB0_37
; %bb.34:                               ;   in Loop: Header=BB0_8 Depth=2
	ds_read_b96 v[39:41], v27 offset:768
	s_cmp_lg_u32 s51, s17
	s_cselect_b64 s[40:41], -1, 0
	s_or_b64 s[40:41], s[30:31], s[40:41]
	s_waitcnt vmcnt(1) lgkmcnt(0)
	v_sub_f32_e32 v37, v40, v20
	v_sub_f32_e32 v39, v39, v19
	v_mul_f32_e32 v0, v37, v37
	v_sub_f32_e32 v36, v41, v21
	v_fmac_f32_e32 v0, v39, v39
	v_fmac_f32_e32 v0, v36, v36
	v_cmp_gt_f32_e32 vcc, s21, v0
	s_and_b64 s[54:55], vcc, s[40:41]
	s_and_saveexec_b64 s[40:41], s[54:55]
	s_cbranch_execz .LBB0_36
; %bb.35:                               ;   in Loop: Header=BB0_8 Depth=2
	v_and_b32_e32 v40, s53, v61
	v_cmp_eq_u32_e32 vcc, 0, v40
	buffer_load_dword v40, off, s[56:59], 0 offset:36 ; 4-byte Folded Reload
	v_cndmask_b32_e64 v42, 1.0, 0, vcc
	v_mov_b32_e32 v43, s13
	v_max_f32_e32 v0, v0, v0
	v_max_f32_e32 v47, 0x34cd15ae, v0
	ds_read_b32 v38, v27 offset:780
	s_waitcnt vmcnt(0)
	ds_read_b32 v40, v40 offset:1984
	s_waitcnt lgkmcnt(0)
	v_mad_u64_u32 v[40:41], s[54:55], v40, s20, v[24:25]
	v_ashrrev_i32_e32 v41, 31, v40
	v_lshlrev_b64 v[40:41], 3, v[40:41]
	v_add_co_u32_e32 v40, vcc, s12, v40
	v_addc_co_u32_e32 v41, vcc, v43, v41, vcc
	global_load_dwordx2 v[40:41], v[40:41], off
	v_rsq_f32_e32 v43, v47
	v_mul_f32_e32 v47, v56, v47
	v_mul_f32_e32 v50, v47, v47
	v_mul_f32_e32 v45, v43, v43
	v_mul_f32_e32 v0, v45, v45
	v_mul_f32_e32 v0, v45, v0
	v_mul_f32_e32 v0, v42, v0
	s_waitcnt vmcnt(0)
	v_fma_f32 v40, v0, v41, -v40
	v_mul_f32_e32 v41, v22, v38
	v_mov_b32_e32 v38, 0x3ded3cb2
	v_mul_f32_e32 v0, v0, v40
	v_fmac_f32_e32 v38, 0x3a92b707, v50
	v_mov_b32_e32 v40, 0x3f01e2bc
	v_fmac_f32_e32 v40, 0x3c739487, v50
	v_fma_f32 v38, v50, v38, 1.0
	v_fmac_f32_e32 v38, v47, v40
	v_div_scale_f32 v40, s[54:55], v38, v38, 1.0
	v_mul_f32_e32 v0, v45, v0
	v_mul_f32_e32 v45, v42, v45
	v_rcp_f32_e32 v42, v40
	v_fma_f32 v49, -v40, v42, 1.0
	v_fmac_f32_e32 v42, v49, v42
	v_div_scale_f32 v49, vcc, 1.0, v38, 1.0
	v_mul_f32_e32 v52, v49, v42
	v_fma_f32 v54, -v40, v52, v49
	v_fmac_f32_e32 v52, v54, v42
	v_fma_f32 v40, -v40, v52, v49
	v_div_fmas_f32 v40, v40, v42, v52
	v_mov_b32_e32 v42, 0x3a83ca0c
	v_fmac_f32_e32 v42, 0x35c55945, v50
	v_fma_f32 v42, v50, v42, v59
	v_div_fixup_f32 v38, v40, v38, 1.0
	v_mov_b32_e32 v40, 0xb85ffb93
	v_fmac_f32_e32 v40, 0xb2951928, v50
	v_fma_f32 v40, v50, v40, v58
	v_fma_f32 v40, v50, v40, v60
	v_fmac_f32_e32 v40, v47, v42
	v_mul_f32_e32 v38, v38, v40
	v_mul_f32_e32 v38, v57, v38
	v_fmac_f32_e32 v38, v43, v45
	v_fmac_f32_e32 v0, v38, v41
	v_fma_f32 v34, -v39, v0, v34
	v_fma_f32 v63, -v37, v0, v63
	;; [unrolled: 1-line block ×3, first 2 shown]
	v_fma_f32 v8, v39, v0, v8
	v_fma_f32 v16, v37, v0, v16
	v_fmac_f32_e32 v30, v36, v0
.LBB0_36:                               ;   in Loop: Header=BB0_8 Depth=2
	s_or_b64 exec, exec, s[40:41]
.LBB0_37:                               ;   in Loop: Header=BB0_8 Depth=2
	s_or_b64 exec, exec, s[38:39]
	s_lshl_b32 s18, s18, 7
	v_and_b32_e32 v0, s18, v25
	v_cmp_ne_u32_e32 vcc, 0, v0
	s_and_saveexec_b64 s[38:39], vcc
	s_cbranch_execz .LBB0_41
; %bb.38:                               ;   in Loop: Header=BB0_8 Depth=2
	ds_read_b96 v[39:41], v26 offset:896
	s_cmp_lg_u32 s52, s17
	s_cselect_b64 s[40:41], -1, 0
	s_or_b64 s[40:41], s[30:31], s[40:41]
	s_waitcnt vmcnt(1) lgkmcnt(0)
	v_sub_f32_e32 v20, v40, v20
	v_sub_f32_e32 v36, v39, v19
	v_mul_f32_e32 v0, v20, v20
	v_sub_f32_e32 v19, v41, v21
	v_fmac_f32_e32 v0, v36, v36
	v_fmac_f32_e32 v0, v19, v19
	v_cmp_gt_f32_e32 vcc, s21, v0
	s_and_b64 s[54:55], vcc, s[40:41]
	s_and_saveexec_b64 s[40:41], s[54:55]
	s_cbranch_execz .LBB0_40
; %bb.39:                               ;   in Loop: Header=BB0_8 Depth=2
	buffer_load_dword v38, off, s[56:59], 0 offset:40 ; 4-byte Folded Reload
	v_and_b32_e32 v37, s18, v61
	v_cmp_eq_u32_e32 vcc, 0, v37
	v_cndmask_b32_e64 v37, 1.0, 0, vcc
	v_max_f32_e32 v0, v0, v0
	ds_read_b32 v21, v26 offset:908
	s_waitcnt lgkmcnt(0)
	v_mul_f32_e32 v21, v22, v21
	s_waitcnt vmcnt(0)
	ds_read_b32 v38, v38 offset:2016
	s_waitcnt lgkmcnt(0)
	v_mad_u64_u32 v[39:40], s[54:55], v38, s20, v[24:25]
	v_mov_b32_e32 v24, s13
	v_max_f32_e32 v38, 0x34cd15ae, v0
	v_ashrrev_i32_e32 v40, 31, v39
	v_lshlrev_b64 v[39:40], 3, v[39:40]
	v_add_co_u32_e32 v39, vcc, s12, v39
	v_addc_co_u32_e32 v40, vcc, v24, v40, vcc
	global_load_dwordx2 v[39:40], v[39:40], off
	v_rsq_f32_e32 v24, v38
	v_mul_f32_e32 v41, v24, v24
	v_mul_f32_e32 v0, v41, v41
	;; [unrolled: 1-line block ×6, first 2 shown]
	v_mov_b32_e32 v38, 0x3ded3cb2
	s_waitcnt vmcnt(0)
	v_fma_f32 v39, v0, v40, -v39
	v_mul_f32_e32 v0, v0, v39
	v_mul_f32_e32 v39, v37, v37
	v_fmac_f32_e32 v38, 0x3a92b707, v39
	v_mov_b32_e32 v40, 0x3f01e2bc
	v_fmac_f32_e32 v40, 0x3c739487, v39
	v_fma_f32 v38, v39, v38, 1.0
	v_fmac_f32_e32 v38, v37, v40
	v_div_scale_f32 v40, s[54:55], v38, v38, 1.0
	v_mul_f32_e32 v0, v41, v0
	v_rcp_f32_e32 v41, v40
	v_fma_f32 v42, -v40, v41, 1.0
	v_fmac_f32_e32 v41, v42, v41
	v_div_scale_f32 v42, vcc, 1.0, v38, 1.0
	v_mul_f32_e32 v43, v42, v41
	v_fma_f32 v45, -v40, v43, v42
	v_fmac_f32_e32 v43, v45, v41
	v_fma_f32 v40, -v40, v43, v42
	v_div_fmas_f32 v40, v40, v41, v43
	v_mov_b32_e32 v41, 0x3a83ca0c
	v_fmac_f32_e32 v41, 0x35c55945, v39
	v_fma_f32 v41, v39, v41, v59
	v_div_fixup_f32 v38, v40, v38, 1.0
	v_mov_b32_e32 v40, 0xb85ffb93
	v_fmac_f32_e32 v40, 0xb2951928, v39
	v_fma_f32 v40, v39, v40, v58
	v_fma_f32 v39, v39, v40, v60
	v_fmac_f32_e32 v39, v37, v41
	v_mul_f32_e32 v37, v38, v39
	v_mul_f32_e32 v37, v57, v37
	v_fmac_f32_e32 v37, v24, v22
	v_fmac_f32_e32 v0, v37, v21
	v_fma_f32 v34, -v36, v0, v34
	v_fma_f32 v63, -v20, v0, v63
	v_fma_f32 v62, -v19, v0, v62
	v_fma_f32 v9, v36, v0, v9
	v_fma_f32 v17, v20, v0, v17
	v_fmac_f32_e32 v29, v19, v0
.LBB0_40:                               ;   in Loop: Header=BB0_8 Depth=2
	s_or_b64 exec, exec, s[40:41]
.LBB0_41:                               ;   in Loop: Header=BB0_8 Depth=2
	s_or_b64 exec, exec, s[38:39]
	s_waitcnt vmcnt(1)
	v_and_b32_e32 v19, 63, v55
	v_cmp_ne_u32_e32 vcc, 63, v19
	v_addc_co_u32_e32 v0, vcc, 0, v55, vcc
	v_add_u32_e32 v21, -1, v55
	v_and_b32_e32 v22, 64, v55
	v_cmp_lt_i32_e32 vcc, v21, v22
	v_cndmask_b32_e32 v21, v21, v55, vcc
	v_lshlrev_b32_e32 v0, 2, v0
	v_lshlrev_b32_e32 v21, 2, v21
	ds_bpermute_b32 v20, v0, v34
	ds_bpermute_b32 v21, v21, v63
	v_cmp_gt_u32_e32 vcc, 62, v19
	ds_bpermute_b32 v0, v0, v62
	s_waitcnt lgkmcnt(2)
	v_add_f32_e32 v20, v34, v20
	s_waitcnt lgkmcnt(1)
	v_add_f32_e32 v21, v63, v21
	v_cndmask_b32_e64 v20, v21, v20, s[0:1]
	v_cndmask_b32_e64 v21, 0, 2, vcc
	v_add_lshl_u32 v21, v21, v55, 2
	ds_bpermute_b32 v21, v21, v20
	s_waitcnt lgkmcnt(1)
	v_add_f32_e32 v0, v62, v0
	s_waitcnt lgkmcnt(0)
	v_add_f32_e32 v20, v20, v21
	v_add_u32_e32 v21, -2, v55
	v_cmp_lt_i32_e32 vcc, v21, v22
	v_cndmask_b32_e32 v21, v21, v55, vcc
	v_lshlrev_b32_e32 v21, 2, v21
	ds_bpermute_b32 v21, v21, v0
	v_cmp_gt_u32_e32 vcc, 60, v19
	v_cndmask_b32_e64 v19, 0, 4, vcc
	v_add_lshl_u32 v19, v19, v55, 2
	s_waitcnt lgkmcnt(0)
	v_add_f32_e32 v0, v0, v21
	v_cndmask_b32_e64 v0, v0, v20, s[2:3]
	ds_bpermute_b32 v21, v19, v0
	s_and_saveexec_b64 s[38:39], s[4:5]
	s_xor_b64 s[38:39], exec, s[38:39]
	s_cbranch_execz .LBB0_6
; %bb.42:                               ;   in Loop: Header=BB0_8 Depth=2
	buffer_load_dword v19, off, s[56:59], 0 offset:4 ; 4-byte Folded Reload
	buffer_load_dword v20, off, s[56:59], 0 offset:8 ; 4-byte Folded Reload
	s_waitcnt lgkmcnt(0)
	v_add_f32_e32 v0, v0, v21
	s_waitcnt vmcnt(0)
	v_mad_i64_i32 v[19:20], s[40:41], v23, 12, v[19:20]
	s_mov_b64 s[40:41], 0
	global_load_dword v22, v[19:20], off
.LBB0_43:                               ;   Parent Loop BB0_4 Depth=1
                                        ;     Parent Loop BB0_8 Depth=2
                                        ; =>    This Inner Loop Header: Depth=3
	s_waitcnt vmcnt(0)
	v_add_f32_e32 v21, v22, v0
	global_atomic_cmpswap v21, v[19:20], v[21:22], off glc
	s_waitcnt vmcnt(0)
	v_cmp_eq_u32_e32 vcc, v21, v22
	s_or_b64 s[40:41], vcc, s[40:41]
	v_mov_b32_e32 v22, v21
	s_andn2_b64 exec, exec, s[40:41]
	s_cbranch_execnz .LBB0_43
; %bb.44:                               ;   in Loop: Header=BB0_8 Depth=2
	s_or_b64 exec, exec, s[40:41]
	s_branch .LBB0_6
.LBB0_45:
	v_mov_b32_e32 v2, 0
	v_mov_b32_e32 v9, v2
	;; [unrolled: 1-line block ×24, first 2 shown]
	s_branch .LBB0_47
.LBB0_46:
	buffer_load_dword v0, off, s[56:59], 0 offset:56 ; 4-byte Folded Reload
	buffer_load_dword v19, off, s[56:59], 0 offset:60 ; 4-byte Folded Reload
	buffer_load_dword v28, off, s[56:59], 0 ; 4-byte Folded Reload
.LBB0_47:
	s_waitcnt vmcnt(1)
	v_lshlrev_b32_e32 v23, 2, v19
	v_cmp_gt_u32_e64 s[2:3], 4, v1
	ds_write2st64_b32 v23, v2, v10 offset0:4 offset1:5
	ds_write_b32 v23, v18 offset:1536
	s_waitcnt vmcnt(0) lgkmcnt(0)
	s_barrier
	s_and_saveexec_b64 s[0:1], s[2:3]
	s_cbranch_execz .LBB0_49
; %bb.48:
	v_add_u32_e32 v2, 0x400, v23
	ds_read2_b32 v[18:19], v2 offset1:32
	ds_read2_b32 v[20:21], v2 offset0:64 offset1:96
	ds_read2_b32 v[24:25], v2 offset0:128 offset1:160
	s_waitcnt lgkmcnt(2)
	v_add_f32_e32 v18, v19, v18
	s_waitcnt lgkmcnt(1)
	v_add_f32_e32 v2, v21, v20
	;; [unrolled: 2-line block ×3, first 2 shown]
	ds_write2st64_b32 v23, v18, v2 offset0:4 offset1:5
	ds_write_b32 v23, v10 offset:1536
.LBB0_49:
	s_or_b64 exec, exec, s[0:1]
	v_cmp_gt_u32_e64 s[4:5], 2, v1
	s_waitcnt lgkmcnt(0)
	s_barrier
	s_and_saveexec_b64 s[0:1], s[4:5]
	s_cbranch_execz .LBB0_51
; %bb.50:
	v_add_u32_e32 v2, 0x400, v23
	ds_read2_b32 v[18:19], v2 offset1:16
	ds_read2_b32 v[20:21], v2 offset0:64 offset1:80
	ds_read2_b32 v[24:25], v2 offset0:128 offset1:144
	s_waitcnt lgkmcnt(2)
	v_add_f32_e32 v18, v19, v18
	s_waitcnt lgkmcnt(1)
	v_add_f32_e32 v2, v21, v20
	;; [unrolled: 2-line block ×3, first 2 shown]
	ds_write2st64_b32 v23, v18, v2 offset0:4 offset1:5
	ds_write_b32 v23, v10 offset:1536
.LBB0_51:
	s_or_b64 exec, exec, s[0:1]
	s_bitcmp1_b32 s44, 0
	s_cselect_b64 s[0:1], -1, 0
	v_lshlrev_b32_e32 v2, 8, v1
	v_lshlrev_b32_e32 v22, 2, v1
	s_and_b64 vcc, s[0:1], s[6:7]
	v_add_u32_e32 v25, s43, v0
	v_cmp_gt_u32_e64 s[0:1], 3, v1
	v_lshl_add_u32 v24, v0, 2, v2
	v_mov_b32_e32 v1, s11
	v_add_co_u32_e64 v0, s[6:7], s10, v22
	v_mov_b32_e32 v18, 0
	v_addc_co_u32_e64 v1, s[6:7], 0, v1, s[6:7]
	s_waitcnt lgkmcnt(0)
	s_barrier
	s_and_saveexec_b64 s[8:9], s[0:1]
	s_cbranch_execz .LBB0_55
; %bb.52:
	v_mad_i64_i32 v[18:19], s[6:7], v25, 12, v[0:1]
	v_add_u32_e32 v2, 0x400, v24
	ds_read2_b32 v[26:27], v2 offset1:8
	global_load_dword v21, v[18:19], off
	s_mov_b64 s[10:11], 0
	s_waitcnt lgkmcnt(0)
	v_add_f32_e32 v2, v26, v27
.LBB0_53:                               ; =>This Inner Loop Header: Depth=1
	s_waitcnt vmcnt(0)
	v_add_f32_e32 v20, v21, v2
	global_atomic_cmpswap v10, v[18:19], v[20:21], off glc
	s_waitcnt vmcnt(0)
	v_cmp_eq_u32_e64 s[6:7], v10, v21
	s_or_b64 s[10:11], s[6:7], s[10:11]
	v_mov_b32_e32 v21, v10
	s_andn2_b64 exec, exec, s[10:11]
	s_cbranch_execnz .LBB0_53
; %bb.54:
	s_or_b64 exec, exec, s[10:11]
	v_add_f32_e32 v2, 0, v2
	v_cndmask_b32_e32 v18, 0, v2, vcc
.LBB0_55:
	s_or_b64 exec, exec, s[8:9]
	s_barrier
	ds_write2st64_b32 v23, v3, v11 offset0:4 offset1:5
	ds_write_b32 v23, v28 offset:1536
	s_waitcnt lgkmcnt(0)
	s_barrier
	s_and_saveexec_b64 s[6:7], s[2:3]
	s_cbranch_execz .LBB0_57
; %bb.56:
	v_add_u32_e32 v19, 0x400, v23
	ds_read2_b32 v[2:3], v19 offset1:32
	ds_read2_b32 v[10:11], v19 offset0:64 offset1:96
	ds_read2_b32 v[19:20], v19 offset0:128 offset1:160
	s_waitcnt lgkmcnt(2)
	v_add_f32_e32 v2, v3, v2
	s_waitcnt lgkmcnt(1)
	v_add_f32_e32 v3, v11, v10
	;; [unrolled: 2-line block ×3, first 2 shown]
	ds_write2st64_b32 v23, v2, v3 offset0:4 offset1:5
	ds_write_b32 v23, v10 offset:1536
.LBB0_57:
	s_or_b64 exec, exec, s[6:7]
	s_waitcnt lgkmcnt(0)
	s_barrier
	s_and_saveexec_b64 s[6:7], s[4:5]
	s_cbranch_execz .LBB0_59
; %bb.58:
	v_add_u32_e32 v19, 0x400, v23
	ds_read2_b32 v[2:3], v19 offset1:16
	ds_read2_b32 v[10:11], v19 offset0:64 offset1:80
	ds_read2_b32 v[19:20], v19 offset0:128 offset1:144
	s_waitcnt lgkmcnt(2)
	v_add_f32_e32 v2, v3, v2
	s_waitcnt lgkmcnt(1)
	v_add_f32_e32 v3, v11, v10
	;; [unrolled: 2-line block ×3, first 2 shown]
	ds_write2st64_b32 v23, v2, v3 offset0:4 offset1:5
	ds_write_b32 v23, v10 offset:1536
.LBB0_59:
	s_or_b64 exec, exec, s[6:7]
	s_waitcnt lgkmcnt(0)
	s_barrier
	s_and_saveexec_b64 s[8:9], s[0:1]
	s_cbranch_execz .LBB0_63
; %bb.60:
	v_add_u32_e32 v2, 8, v25
	v_mad_i64_i32 v[2:3], s[6:7], v2, 12, v[0:1]
	v_add_u32_e32 v10, 0x400, v24
	ds_read2_b32 v[19:20], v10 offset1:8
	global_load_dword v11, v[2:3], off
	s_mov_b64 s[10:11], 0
	s_waitcnt lgkmcnt(0)
	v_add_f32_e32 v19, v19, v20
.LBB0_61:                               ; =>This Inner Loop Header: Depth=1
	s_waitcnt vmcnt(0)
	v_add_f32_e32 v10, v11, v19
	global_atomic_cmpswap v10, v[2:3], v[10:11], off glc
	s_waitcnt vmcnt(0)
	v_cmp_eq_u32_e64 s[6:7], v10, v11
	s_or_b64 s[10:11], s[6:7], s[10:11]
	v_mov_b32_e32 v11, v10
	s_andn2_b64 exec, exec, s[10:11]
	s_cbranch_execnz .LBB0_61
; %bb.62:
	s_or_b64 exec, exec, s[10:11]
	v_add_f32_e32 v2, v18, v19
	v_cndmask_b32_e32 v18, v18, v2, vcc
.LBB0_63:
	s_or_b64 exec, exec, s[8:9]
	s_barrier
	ds_write2st64_b32 v23, v4, v12 offset0:4 offset1:5
	ds_write_b32 v23, v35 offset:1536
	s_waitcnt lgkmcnt(0)
	s_barrier
	s_and_saveexec_b64 s[6:7], s[2:3]
	s_cbranch_execz .LBB0_65
; %bb.64:
	v_add_u32_e32 v4, 0x400, v23
	ds_read2_b32 v[2:3], v4 offset1:32
	ds_read2_b32 v[10:11], v4 offset0:64 offset1:96
	ds_read2_b32 v[19:20], v4 offset0:128 offset1:160
	s_waitcnt lgkmcnt(2)
	v_add_f32_e32 v2, v3, v2
	s_waitcnt lgkmcnt(1)
	v_add_f32_e32 v3, v11, v10
	;; [unrolled: 2-line block ×3, first 2 shown]
	ds_write2st64_b32 v23, v2, v3 offset0:4 offset1:5
	ds_write_b32 v23, v4 offset:1536
.LBB0_65:
	s_or_b64 exec, exec, s[6:7]
	s_waitcnt lgkmcnt(0)
	s_barrier
	s_and_saveexec_b64 s[6:7], s[4:5]
	s_cbranch_execz .LBB0_67
; %bb.66:
	v_add_u32_e32 v4, 0x400, v23
	ds_read2_b32 v[2:3], v4 offset1:16
	ds_read2_b32 v[10:11], v4 offset0:64 offset1:80
	ds_read2_b32 v[19:20], v4 offset0:128 offset1:144
	s_waitcnt lgkmcnt(2)
	v_add_f32_e32 v2, v3, v2
	s_waitcnt lgkmcnt(1)
	v_add_f32_e32 v3, v11, v10
	;; [unrolled: 2-line block ×3, first 2 shown]
	ds_write2st64_b32 v23, v2, v3 offset0:4 offset1:5
	ds_write_b32 v23, v4 offset:1536
.LBB0_67:
	s_or_b64 exec, exec, s[6:7]
	s_waitcnt lgkmcnt(0)
	s_barrier
	s_and_saveexec_b64 s[8:9], s[0:1]
	s_cbranch_execz .LBB0_71
; %bb.68:
	v_add_u32_e32 v2, 16, v25
	v_mad_i64_i32 v[2:3], s[6:7], v2, 12, v[0:1]
	v_add_u32_e32 v4, 0x400, v24
	ds_read2_b32 v[19:20], v4 offset1:8
	global_load_dword v11, v[2:3], off
	s_mov_b64 s[10:11], 0
	s_waitcnt lgkmcnt(0)
	v_add_f32_e32 v4, v19, v20
.LBB0_69:                               ; =>This Inner Loop Header: Depth=1
	s_waitcnt vmcnt(0)
	v_add_f32_e32 v10, v11, v4
	global_atomic_cmpswap v10, v[2:3], v[10:11], off glc
	s_waitcnt vmcnt(0)
	v_cmp_eq_u32_e64 s[6:7], v10, v11
	s_or_b64 s[10:11], s[6:7], s[10:11]
	v_mov_b32_e32 v11, v10
	s_andn2_b64 exec, exec, s[10:11]
	s_cbranch_execnz .LBB0_69
; %bb.70:
	s_or_b64 exec, exec, s[10:11]
	v_add_f32_e32 v2, v18, v4
	v_cndmask_b32_e32 v18, v18, v2, vcc
.LBB0_71:
	s_or_b64 exec, exec, s[8:9]
	s_barrier
	ds_write2st64_b32 v23, v5, v13 offset0:4 offset1:5
	ds_write_b32 v23, v33 offset:1536
	s_waitcnt lgkmcnt(0)
	s_barrier
	s_and_saveexec_b64 s[6:7], s[2:3]
	s_cbranch_execz .LBB0_73
; %bb.72:
	v_add_u32_e32 v10, 0x400, v23
	ds_read2_b32 v[2:3], v10 offset1:32
	ds_read2_b32 v[4:5], v10 offset0:64 offset1:96
	ds_read2_b32 v[10:11], v10 offset0:128 offset1:160
	s_waitcnt lgkmcnt(2)
	v_add_f32_e32 v2, v3, v2
	s_waitcnt lgkmcnt(1)
	v_add_f32_e32 v3, v5, v4
	;; [unrolled: 2-line block ×3, first 2 shown]
	ds_write2st64_b32 v23, v2, v3 offset0:4 offset1:5
	ds_write_b32 v23, v4 offset:1536
.LBB0_73:
	s_or_b64 exec, exec, s[6:7]
	s_waitcnt lgkmcnt(0)
	s_barrier
	s_and_saveexec_b64 s[6:7], s[4:5]
	s_cbranch_execz .LBB0_75
; %bb.74:
	v_add_u32_e32 v10, 0x400, v23
	ds_read2_b32 v[2:3], v10 offset1:16
	ds_read2_b32 v[4:5], v10 offset0:64 offset1:80
	ds_read2_b32 v[10:11], v10 offset0:128 offset1:144
	s_waitcnt lgkmcnt(2)
	v_add_f32_e32 v2, v3, v2
	s_waitcnt lgkmcnt(1)
	v_add_f32_e32 v3, v5, v4
	;; [unrolled: 2-line block ×3, first 2 shown]
	ds_write2st64_b32 v23, v2, v3 offset0:4 offset1:5
	ds_write_b32 v23, v4 offset:1536
.LBB0_75:
	s_or_b64 exec, exec, s[6:7]
	s_waitcnt lgkmcnt(0)
	s_barrier
	s_and_saveexec_b64 s[8:9], s[0:1]
	s_cbranch_execz .LBB0_79
; %bb.76:
	v_add_u32_e32 v2, 24, v25
	v_mad_i64_i32 v[2:3], s[6:7], v2, 12, v[0:1]
	v_add_u32_e32 v4, 0x400, v24
	ds_read2_b32 v[10:11], v4 offset1:8
	global_load_dword v5, v[2:3], off
	s_mov_b64 s[10:11], 0
	s_waitcnt lgkmcnt(0)
	v_add_f32_e32 v10, v10, v11
.LBB0_77:                               ; =>This Inner Loop Header: Depth=1
	s_waitcnt vmcnt(0)
	v_add_f32_e32 v4, v5, v10
	global_atomic_cmpswap v4, v[2:3], v[4:5], off glc
	s_waitcnt vmcnt(0)
	v_cmp_eq_u32_e64 s[6:7], v4, v5
	s_or_b64 s[10:11], s[6:7], s[10:11]
	v_mov_b32_e32 v5, v4
	s_andn2_b64 exec, exec, s[10:11]
	s_cbranch_execnz .LBB0_77
; %bb.78:
	s_or_b64 exec, exec, s[10:11]
	v_add_f32_e32 v2, v18, v10
	v_cndmask_b32_e32 v18, v18, v2, vcc
.LBB0_79:
	s_or_b64 exec, exec, s[8:9]
	s_barrier
	ds_write2st64_b32 v23, v6, v14 offset0:4 offset1:5
	ds_write_b32 v23, v32 offset:1536
	s_waitcnt lgkmcnt(0)
	s_barrier
	s_and_saveexec_b64 s[6:7], s[2:3]
	s_cbranch_execz .LBB0_81
; %bb.80:
	v_add_u32_e32 v6, 0x400, v23
	ds_read2_b32 v[2:3], v6 offset1:32
	ds_read2_b32 v[4:5], v6 offset0:64 offset1:96
	ds_read2_b32 v[10:11], v6 offset0:128 offset1:160
	s_waitcnt lgkmcnt(2)
	v_add_f32_e32 v2, v3, v2
	s_waitcnt lgkmcnt(1)
	v_add_f32_e32 v3, v5, v4
	;; [unrolled: 2-line block ×3, first 2 shown]
	ds_write2st64_b32 v23, v2, v3 offset0:4 offset1:5
	ds_write_b32 v23, v4 offset:1536
.LBB0_81:
	s_or_b64 exec, exec, s[6:7]
	s_waitcnt lgkmcnt(0)
	s_barrier
	s_and_saveexec_b64 s[6:7], s[4:5]
	s_cbranch_execz .LBB0_83
; %bb.82:
	v_add_u32_e32 v6, 0x400, v23
	ds_read2_b32 v[2:3], v6 offset1:16
	ds_read2_b32 v[4:5], v6 offset0:64 offset1:80
	ds_read2_b32 v[10:11], v6 offset0:128 offset1:144
	s_waitcnt lgkmcnt(2)
	v_add_f32_e32 v2, v3, v2
	s_waitcnt lgkmcnt(1)
	v_add_f32_e32 v3, v5, v4
	;; [unrolled: 2-line block ×3, first 2 shown]
	ds_write2st64_b32 v23, v2, v3 offset0:4 offset1:5
	ds_write_b32 v23, v4 offset:1536
.LBB0_83:
	s_or_b64 exec, exec, s[6:7]
	s_waitcnt lgkmcnt(0)
	s_barrier
	s_and_saveexec_b64 s[8:9], s[0:1]
	s_cbranch_execz .LBB0_87
; %bb.84:
	v_add_u32_e32 v2, 32, v25
	v_mad_i64_i32 v[2:3], s[6:7], v2, 12, v[0:1]
	v_add_u32_e32 v4, 0x400, v24
	ds_read2_b32 v[10:11], v4 offset1:8
	global_load_dword v5, v[2:3], off
	s_mov_b64 s[10:11], 0
	s_waitcnt lgkmcnt(0)
	v_add_f32_e32 v6, v10, v11
.LBB0_85:                               ; =>This Inner Loop Header: Depth=1
	s_waitcnt vmcnt(0)
	v_add_f32_e32 v4, v5, v6
	global_atomic_cmpswap v4, v[2:3], v[4:5], off glc
	s_waitcnt vmcnt(0)
	v_cmp_eq_u32_e64 s[6:7], v4, v5
	s_or_b64 s[10:11], s[6:7], s[10:11]
	v_mov_b32_e32 v5, v4
	s_andn2_b64 exec, exec, s[10:11]
	s_cbranch_execnz .LBB0_85
; %bb.86:
	s_or_b64 exec, exec, s[10:11]
	v_add_f32_e32 v2, v18, v6
	v_cndmask_b32_e32 v18, v18, v2, vcc
.LBB0_87:
	s_or_b64 exec, exec, s[8:9]
	s_barrier
	ds_write2st64_b32 v23, v7, v15 offset0:4 offset1:5
	ds_write_b32 v23, v31 offset:1536
	s_waitcnt lgkmcnt(0)
	s_barrier
	s_and_saveexec_b64 s[6:7], s[2:3]
	s_cbranch_execz .LBB0_89
; %bb.88:
	v_add_u32_e32 v6, 0x400, v23
	ds_read2_b32 v[2:3], v6 offset1:32
	ds_read2_b32 v[4:5], v6 offset0:64 offset1:96
	ds_read2_b32 v[6:7], v6 offset0:128 offset1:160
	s_waitcnt lgkmcnt(2)
	v_add_f32_e32 v2, v3, v2
	s_waitcnt lgkmcnt(1)
	v_add_f32_e32 v3, v5, v4
	;; [unrolled: 2-line block ×3, first 2 shown]
	ds_write2st64_b32 v23, v2, v3 offset0:4 offset1:5
	ds_write_b32 v23, v4 offset:1536
.LBB0_89:
	s_or_b64 exec, exec, s[6:7]
	s_waitcnt lgkmcnt(0)
	s_barrier
	s_and_saveexec_b64 s[6:7], s[4:5]
	s_cbranch_execz .LBB0_91
; %bb.90:
	v_add_u32_e32 v6, 0x400, v23
	ds_read2_b32 v[2:3], v6 offset1:16
	ds_read2_b32 v[4:5], v6 offset0:64 offset1:80
	ds_read2_b32 v[6:7], v6 offset0:128 offset1:144
	s_waitcnt lgkmcnt(2)
	v_add_f32_e32 v2, v3, v2
	s_waitcnt lgkmcnt(1)
	v_add_f32_e32 v3, v5, v4
	s_waitcnt lgkmcnt(0)
	v_add_f32_e32 v4, v7, v6
	ds_write2st64_b32 v23, v2, v3 offset0:4 offset1:5
	ds_write_b32 v23, v4 offset:1536
.LBB0_91:
	s_or_b64 exec, exec, s[6:7]
	s_waitcnt lgkmcnt(0)
	s_barrier
	s_and_saveexec_b64 s[8:9], s[0:1]
	s_cbranch_execz .LBB0_95
; %bb.92:
	v_add_u32_e32 v2, 40, v25
	v_mad_i64_i32 v[2:3], s[6:7], v2, 12, v[0:1]
	v_add_u32_e32 v4, 0x400, v24
	ds_read2_b32 v[6:7], v4 offset1:8
	global_load_dword v5, v[2:3], off
	s_mov_b64 s[10:11], 0
	s_waitcnt lgkmcnt(0)
	v_add_f32_e32 v6, v6, v7
.LBB0_93:                               ; =>This Inner Loop Header: Depth=1
	s_waitcnt vmcnt(0)
	v_add_f32_e32 v4, v5, v6
	global_atomic_cmpswap v4, v[2:3], v[4:5], off glc
	s_waitcnt vmcnt(0)
	v_cmp_eq_u32_e64 s[6:7], v4, v5
	s_or_b64 s[10:11], s[6:7], s[10:11]
	v_mov_b32_e32 v5, v4
	s_andn2_b64 exec, exec, s[10:11]
	s_cbranch_execnz .LBB0_93
; %bb.94:
	s_or_b64 exec, exec, s[10:11]
	v_add_f32_e32 v2, v18, v6
	v_cndmask_b32_e32 v18, v18, v2, vcc
.LBB0_95:
	s_or_b64 exec, exec, s[8:9]
	s_barrier
	ds_write2st64_b32 v23, v8, v16 offset0:4 offset1:5
	ds_write_b32 v23, v30 offset:1536
	s_waitcnt lgkmcnt(0)
	s_barrier
	s_and_saveexec_b64 s[6:7], s[2:3]
	s_cbranch_execz .LBB0_97
; %bb.96:
	v_add_u32_e32 v6, 0x400, v23
	ds_read2_b32 v[2:3], v6 offset1:32
	ds_read2_b32 v[4:5], v6 offset0:64 offset1:96
	ds_read2_b32 v[6:7], v6 offset0:128 offset1:160
	s_waitcnt lgkmcnt(2)
	v_add_f32_e32 v2, v3, v2
	s_waitcnt lgkmcnt(1)
	v_add_f32_e32 v3, v5, v4
	;; [unrolled: 2-line block ×3, first 2 shown]
	ds_write2st64_b32 v23, v2, v3 offset0:4 offset1:5
	ds_write_b32 v23, v4 offset:1536
.LBB0_97:
	s_or_b64 exec, exec, s[6:7]
	s_waitcnt lgkmcnt(0)
	s_barrier
	s_and_saveexec_b64 s[6:7], s[4:5]
	s_cbranch_execz .LBB0_99
; %bb.98:
	v_add_u32_e32 v6, 0x400, v23
	ds_read2_b32 v[2:3], v6 offset1:16
	ds_read2_b32 v[4:5], v6 offset0:64 offset1:80
	ds_read2_b32 v[6:7], v6 offset0:128 offset1:144
	s_waitcnt lgkmcnt(2)
	v_add_f32_e32 v2, v3, v2
	s_waitcnt lgkmcnt(1)
	v_add_f32_e32 v3, v5, v4
	;; [unrolled: 2-line block ×3, first 2 shown]
	ds_write2st64_b32 v23, v2, v3 offset0:4 offset1:5
	ds_write_b32 v23, v4 offset:1536
.LBB0_99:
	s_or_b64 exec, exec, s[6:7]
	s_waitcnt lgkmcnt(0)
	s_barrier
	s_and_saveexec_b64 s[8:9], s[0:1]
	s_cbranch_execz .LBB0_103
; %bb.100:
	v_add_u32_e32 v2, 48, v25
	v_mad_i64_i32 v[2:3], s[6:7], v2, 12, v[0:1]
	v_add_u32_e32 v4, 0x400, v24
	ds_read2_b32 v[6:7], v4 offset1:8
	global_load_dword v5, v[2:3], off
	s_mov_b64 s[10:11], 0
	s_waitcnt lgkmcnt(0)
	v_add_f32_e32 v6, v6, v7
.LBB0_101:                              ; =>This Inner Loop Header: Depth=1
	s_waitcnt vmcnt(0)
	v_add_f32_e32 v4, v5, v6
	global_atomic_cmpswap v4, v[2:3], v[4:5], off glc
	s_waitcnt vmcnt(0)
	v_cmp_eq_u32_e64 s[6:7], v4, v5
	s_or_b64 s[10:11], s[6:7], s[10:11]
	v_mov_b32_e32 v5, v4
	s_andn2_b64 exec, exec, s[10:11]
	s_cbranch_execnz .LBB0_101
; %bb.102:
	s_or_b64 exec, exec, s[10:11]
	v_add_f32_e32 v2, v18, v6
	v_cndmask_b32_e32 v18, v18, v2, vcc
.LBB0_103:
	s_or_b64 exec, exec, s[8:9]
	s_barrier
	ds_write2st64_b32 v23, v9, v17 offset0:4 offset1:5
	ds_write_b32 v23, v29 offset:1536
	s_waitcnt lgkmcnt(0)
	s_barrier
	s_and_saveexec_b64 s[6:7], s[2:3]
	s_cbranch_execz .LBB0_105
; %bb.104:
	v_add_u32_e32 v6, 0x400, v23
	ds_read2_b32 v[2:3], v6 offset1:32
	ds_read2_b32 v[4:5], v6 offset0:64 offset1:96
	ds_read2_b32 v[6:7], v6 offset0:128 offset1:160
	s_waitcnt lgkmcnt(2)
	v_add_f32_e32 v2, v3, v2
	s_waitcnt lgkmcnt(1)
	v_add_f32_e32 v3, v5, v4
	;; [unrolled: 2-line block ×3, first 2 shown]
	ds_write2st64_b32 v23, v2, v3 offset0:4 offset1:5
	ds_write_b32 v23, v4 offset:1536
.LBB0_105:
	s_or_b64 exec, exec, s[6:7]
	s_waitcnt lgkmcnt(0)
	s_barrier
	s_and_saveexec_b64 s[2:3], s[4:5]
	s_cbranch_execz .LBB0_107
; %bb.106:
	v_add_u32_e32 v6, 0x400, v23
	ds_read2_b32 v[2:3], v6 offset1:16
	ds_read2_b32 v[4:5], v6 offset0:64 offset1:80
	ds_read2_b32 v[6:7], v6 offset0:128 offset1:144
	s_waitcnt lgkmcnt(2)
	v_add_f32_e32 v2, v3, v2
	s_waitcnt lgkmcnt(1)
	v_add_f32_e32 v3, v5, v4
	;; [unrolled: 2-line block ×3, first 2 shown]
	ds_write2st64_b32 v23, v2, v3 offset0:4 offset1:5
	ds_write_b32 v23, v4 offset:1536
.LBB0_107:
	s_or_b64 exec, exec, s[2:3]
	s_waitcnt lgkmcnt(0)
	s_barrier
	s_and_saveexec_b64 s[4:5], s[0:1]
	s_cbranch_execz .LBB0_111
; %bb.108:
	v_add_u32_e32 v2, 56, v25
	v_mad_i64_i32 v[0:1], s[2:3], v2, 12, v[0:1]
	v_add_u32_e32 v2, 0x400, v24
	ds_read2_b32 v[4:5], v2 offset1:8
	global_load_dword v3, v[0:1], off
	s_mov_b64 s[6:7], 0
	s_waitcnt lgkmcnt(0)
	v_add_f32_e32 v4, v4, v5
.LBB0_109:                              ; =>This Inner Loop Header: Depth=1
	s_waitcnt vmcnt(0)
	v_add_f32_e32 v2, v3, v4
	global_atomic_cmpswap v2, v[0:1], v[2:3], off glc
	s_waitcnt vmcnt(0)
	v_cmp_eq_u32_e64 s[2:3], v2, v3
	s_or_b64 s[6:7], s[2:3], s[6:7]
	v_mov_b32_e32 v3, v2
	s_andn2_b64 exec, exec, s[6:7]
	s_cbranch_execnz .LBB0_109
; %bb.110:
	s_or_b64 exec, exec, s[6:7]
	v_add_f32_e32 v0, v18, v4
	v_cndmask_b32_e32 v18, v18, v0, vcc
.LBB0_111:
	s_or_b64 exec, exec, s[4:5]
	s_and_b64 s[0:1], vcc, s[0:1]
	s_barrier
	s_and_saveexec_b64 s[2:3], s[0:1]
	s_cbranch_execz .LBB0_114
; %bb.112:
	s_add_u32 s0, s14, s42
	s_addc_u32 s1, s15, s33
	global_load_dword v3, v22, s[0:1]
	v_mov_b32_e32 v1, s1
	v_add_co_u32_e32 v0, vcc, s0, v22
	v_addc_co_u32_e32 v1, vcc, 0, v1, vcc
	s_mov_b64 s[0:1], 0
.LBB0_113:                              ; =>This Inner Loop Header: Depth=1
	s_waitcnt vmcnt(0)
	v_add_f32_e32 v2, v3, v18
	global_atomic_cmpswap v2, v[0:1], v[2:3], off glc
	s_waitcnt vmcnt(0)
	v_cmp_eq_u32_e32 vcc, v2, v3
	s_or_b64 s[0:1], vcc, s[0:1]
	v_mov_b32_e32 v3, v2
	s_andn2_b64 exec, exec, s[0:1]
	s_cbranch_execnz .LBB0_113
.LBB0_114:
	s_endpgm
	.section	.rodata,"a",@progbits
	.p2align	6, 0x0
	.amdhsa_kernel _Z15nbnxmKernelTestPK15HIP_vector_typeIfLj4EEPN3gmx11BasicVectorIfEES6_S6_P11nbnxn_cj4_tPK9nbnxn_sciPK12nbnxn_excl_tPKiPKS_IfLj2EEifffb
		.amdhsa_group_segment_fixed_size 2048
		.amdhsa_private_segment_fixed_size 68
		.amdhsa_kernarg_size 92
		.amdhsa_user_sgpr_count 6
		.amdhsa_user_sgpr_private_segment_buffer 1
		.amdhsa_user_sgpr_dispatch_ptr 0
		.amdhsa_user_sgpr_queue_ptr 0
		.amdhsa_user_sgpr_kernarg_segment_ptr 1
		.amdhsa_user_sgpr_dispatch_id 0
		.amdhsa_user_sgpr_flat_scratch_init 0
		.amdhsa_user_sgpr_private_segment_size 0
		.amdhsa_uses_dynamic_stack 0
		.amdhsa_system_sgpr_private_segment_wavefront_offset 1
		.amdhsa_system_sgpr_workgroup_id_x 1
		.amdhsa_system_sgpr_workgroup_id_y 0
		.amdhsa_system_sgpr_workgroup_id_z 1
		.amdhsa_system_sgpr_workgroup_info 0
		.amdhsa_system_vgpr_workitem_id 1
		.amdhsa_next_free_vgpr 64
		.amdhsa_next_free_sgpr 61
		.amdhsa_reserve_vcc 1
		.amdhsa_reserve_flat_scratch 0
		.amdhsa_float_round_mode_32 0
		.amdhsa_float_round_mode_16_64 0
		.amdhsa_float_denorm_mode_32 3
		.amdhsa_float_denorm_mode_16_64 3
		.amdhsa_dx10_clamp 1
		.amdhsa_ieee_mode 1
		.amdhsa_fp16_overflow 0
		.amdhsa_exception_fp_ieee_invalid_op 0
		.amdhsa_exception_fp_denorm_src 0
		.amdhsa_exception_fp_ieee_div_zero 0
		.amdhsa_exception_fp_ieee_overflow 0
		.amdhsa_exception_fp_ieee_underflow 0
		.amdhsa_exception_fp_ieee_inexact 0
		.amdhsa_exception_int_div_zero 0
	.end_amdhsa_kernel
	.text
.Lfunc_end0:
	.size	_Z15nbnxmKernelTestPK15HIP_vector_typeIfLj4EEPN3gmx11BasicVectorIfEES6_S6_P11nbnxn_cj4_tPK9nbnxn_sciPK12nbnxn_excl_tPKiPKS_IfLj2EEifffb, .Lfunc_end0-_Z15nbnxmKernelTestPK15HIP_vector_typeIfLj4EEPN3gmx11BasicVectorIfEES6_S6_P11nbnxn_cj4_tPK9nbnxn_sciPK12nbnxn_excl_tPKiPKS_IfLj2EEifffb
                                        ; -- End function
	.set _Z15nbnxmKernelTestPK15HIP_vector_typeIfLj4EEPN3gmx11BasicVectorIfEES6_S6_P11nbnxn_cj4_tPK9nbnxn_sciPK12nbnxn_excl_tPKiPKS_IfLj2EEifffb.num_vgpr, 64
	.set _Z15nbnxmKernelTestPK15HIP_vector_typeIfLj4EEPN3gmx11BasicVectorIfEES6_S6_P11nbnxn_cj4_tPK9nbnxn_sciPK12nbnxn_excl_tPKiPKS_IfLj2EEifffb.num_agpr, 0
	.set _Z15nbnxmKernelTestPK15HIP_vector_typeIfLj4EEPN3gmx11BasicVectorIfEES6_S6_P11nbnxn_cj4_tPK9nbnxn_sciPK12nbnxn_excl_tPKiPKS_IfLj2EEifffb.numbered_sgpr, 60
	.set _Z15nbnxmKernelTestPK15HIP_vector_typeIfLj4EEPN3gmx11BasicVectorIfEES6_S6_P11nbnxn_cj4_tPK9nbnxn_sciPK12nbnxn_excl_tPKiPKS_IfLj2EEifffb.num_named_barrier, 0
	.set _Z15nbnxmKernelTestPK15HIP_vector_typeIfLj4EEPN3gmx11BasicVectorIfEES6_S6_P11nbnxn_cj4_tPK9nbnxn_sciPK12nbnxn_excl_tPKiPKS_IfLj2EEifffb.private_seg_size, 68
	.set _Z15nbnxmKernelTestPK15HIP_vector_typeIfLj4EEPN3gmx11BasicVectorIfEES6_S6_P11nbnxn_cj4_tPK9nbnxn_sciPK12nbnxn_excl_tPKiPKS_IfLj2EEifffb.uses_vcc, 1
	.set _Z15nbnxmKernelTestPK15HIP_vector_typeIfLj4EEPN3gmx11BasicVectorIfEES6_S6_P11nbnxn_cj4_tPK9nbnxn_sciPK12nbnxn_excl_tPKiPKS_IfLj2EEifffb.uses_flat_scratch, 0
	.set _Z15nbnxmKernelTestPK15HIP_vector_typeIfLj4EEPN3gmx11BasicVectorIfEES6_S6_P11nbnxn_cj4_tPK9nbnxn_sciPK12nbnxn_excl_tPKiPKS_IfLj2EEifffb.has_dyn_sized_stack, 0
	.set _Z15nbnxmKernelTestPK15HIP_vector_typeIfLj4EEPN3gmx11BasicVectorIfEES6_S6_P11nbnxn_cj4_tPK9nbnxn_sciPK12nbnxn_excl_tPKiPKS_IfLj2EEifffb.has_recursion, 0
	.set _Z15nbnxmKernelTestPK15HIP_vector_typeIfLj4EEPN3gmx11BasicVectorIfEES6_S6_P11nbnxn_cj4_tPK9nbnxn_sciPK12nbnxn_excl_tPKiPKS_IfLj2EEifffb.has_indirect_call, 0
	.section	.AMDGPU.csdata,"",@progbits
; Kernel info:
; codeLenInByte = 8344
; TotalNumSgprs: 64
; NumVgprs: 64
; ScratchSize: 68
; MemoryBound: 0
; FloatMode: 240
; IeeeMode: 1
; LDSByteSize: 2048 bytes/workgroup (compile time only)
; SGPRBlocks: 8
; VGPRBlocks: 15
; NumSGPRsForWavesPerEU: 65
; NumVGPRsForWavesPerEU: 64
; Occupancy: 4
; WaveLimiterHint : 1
; COMPUTE_PGM_RSRC2:SCRATCH_EN: 1
; COMPUTE_PGM_RSRC2:USER_SGPR: 6
; COMPUTE_PGM_RSRC2:TRAP_HANDLER: 0
; COMPUTE_PGM_RSRC2:TGID_X_EN: 1
; COMPUTE_PGM_RSRC2:TGID_Y_EN: 0
; COMPUTE_PGM_RSRC2:TGID_Z_EN: 1
; COMPUTE_PGM_RSRC2:TIDIG_COMP_CNT: 1
	.section	.AMDGPU.gpr_maximums,"",@progbits
	.set amdgpu.max_num_vgpr, 0
	.set amdgpu.max_num_agpr, 0
	.set amdgpu.max_num_sgpr, 0
	.section	.AMDGPU.csdata,"",@progbits
	.type	__hip_cuid_a1fea133535b8cf0,@object ; @__hip_cuid_a1fea133535b8cf0
	.section	.bss,"aw",@nobits
	.globl	__hip_cuid_a1fea133535b8cf0
__hip_cuid_a1fea133535b8cf0:
	.byte	0                               ; 0x0
	.size	__hip_cuid_a1fea133535b8cf0, 1

	.ident	"AMD clang version 22.0.0git (https://github.com/RadeonOpenCompute/llvm-project roc-7.2.4 26084 f58b06dce1f9c15707c5f808fd002e18c2accf7e)"
	.section	".note.GNU-stack","",@progbits
	.addrsig
	.addrsig_sym __hip_cuid_a1fea133535b8cf0
	.amdgpu_metadata
---
amdhsa.kernels:
  - .args:
      - .actual_access:  read_only
        .address_space:  global
        .offset:         0
        .size:           8
        .value_kind:     global_buffer
      - .address_space:  global
        .offset:         8
        .size:           8
        .value_kind:     global_buffer
      - .actual_access:  read_only
        .address_space:  global
        .offset:         16
        .size:           8
        .value_kind:     global_buffer
      - .address_space:  global
        .offset:         24
        .size:           8
        .value_kind:     global_buffer
      - .actual_access:  read_only
        .address_space:  global
        .offset:         32
        .size:           8
        .value_kind:     global_buffer
      - .actual_access:  read_only
        .address_space:  global
        .offset:         40
        .size:           8
        .value_kind:     global_buffer
      - .actual_access:  read_only
        .address_space:  global
        .offset:         48
        .size:           8
        .value_kind:     global_buffer
      - .actual_access:  read_only
        .address_space:  global
        .offset:         56
        .size:           8
        .value_kind:     global_buffer
      - .actual_access:  read_only
        .address_space:  global
        .offset:         64
        .size:           8
        .value_kind:     global_buffer
      - .offset:         72
        .size:           4
        .value_kind:     by_value
      - .offset:         76
        .size:           4
        .value_kind:     by_value
      - .offset:         80
        .size:           4
        .value_kind:     by_value
      - .offset:         84
        .size:           4
        .value_kind:     by_value
      - .offset:         88
        .size:           1
        .value_kind:     by_value
    .group_segment_fixed_size: 2048
    .kernarg_segment_align: 8
    .kernarg_segment_size: 92
    .language:       OpenCL C
    .language_version:
      - 2
      - 0
    .max_flat_workgroup_size: 1024
    .name:           _Z15nbnxmKernelTestPK15HIP_vector_typeIfLj4EEPN3gmx11BasicVectorIfEES6_S6_P11nbnxn_cj4_tPK9nbnxn_sciPK12nbnxn_excl_tPKiPKS_IfLj2EEifffb
    .private_segment_fixed_size: 68
    .sgpr_count:     64
    .sgpr_spill_count: 0
    .symbol:         _Z15nbnxmKernelTestPK15HIP_vector_typeIfLj4EEPN3gmx11BasicVectorIfEES6_S6_P11nbnxn_cj4_tPK9nbnxn_sciPK12nbnxn_excl_tPKiPKS_IfLj2EEifffb.kd
    .uniform_work_group_size: 1
    .uses_dynamic_stack: false
    .vgpr_count:     64
    .vgpr_spill_count: 17
    .wavefront_size: 64
amdhsa.target:   amdgcn-amd-amdhsa--gfx906
amdhsa.version:
  - 1
  - 2
...

	.end_amdgpu_metadata
